;; amdgpu-corpus repo=ROCm/rocFFT kind=compiled arch=gfx1201 opt=O3
	.text
	.amdgcn_target "amdgcn-amd-amdhsa--gfx1201"
	.amdhsa_code_object_version 6
	.protected	fft_rtc_back_len270_factors_10_3_3_3_wgs_108_tpt_27_halfLds_sp_op_CI_CI_unitstride_sbrr_C2R_dirReg ; -- Begin function fft_rtc_back_len270_factors_10_3_3_3_wgs_108_tpt_27_halfLds_sp_op_CI_CI_unitstride_sbrr_C2R_dirReg
	.globl	fft_rtc_back_len270_factors_10_3_3_3_wgs_108_tpt_27_halfLds_sp_op_CI_CI_unitstride_sbrr_C2R_dirReg
	.p2align	8
	.type	fft_rtc_back_len270_factors_10_3_3_3_wgs_108_tpt_27_halfLds_sp_op_CI_CI_unitstride_sbrr_C2R_dirReg,@function
fft_rtc_back_len270_factors_10_3_3_3_wgs_108_tpt_27_halfLds_sp_op_CI_CI_unitstride_sbrr_C2R_dirReg: ; @fft_rtc_back_len270_factors_10_3_3_3_wgs_108_tpt_27_halfLds_sp_op_CI_CI_unitstride_sbrr_C2R_dirReg
; %bb.0:
	s_clause 0x2
	s_load_b128 s[8:11], s[0:1], 0x0
	s_load_b128 s[4:7], s[0:1], 0x58
	;; [unrolled: 1-line block ×3, first 2 shown]
	v_mul_u32_u24_e32 v1, 0x97c, v0
	v_mov_b32_e32 v3, 0
	s_delay_alu instid0(VALU_DEP_2) | instskip(SKIP_2) | instid1(VALU_DEP_4)
	v_lshrrev_b32_e32 v7, 16, v1
	v_mov_b32_e32 v1, 0
	v_mov_b32_e32 v2, 0
	;; [unrolled: 1-line block ×3, first 2 shown]
	s_delay_alu instid0(VALU_DEP_4) | instskip(SKIP_2) | instid1(VALU_DEP_1)
	v_lshl_add_u32 v5, ttmp9, 2, v7
	s_wait_kmcnt 0x0
	v_cmp_lt_u64_e64 s2, s[10:11], 2
	s_and_b32 vcc_lo, exec_lo, s2
	s_cbranch_vccnz .LBB0_8
; %bb.1:
	s_load_b64 s[2:3], s[0:1], 0x10
	v_mov_b32_e32 v1, 0
	v_mov_b32_e32 v2, 0
	s_add_nc_u64 s[16:17], s[14:15], 8
	s_add_nc_u64 s[18:19], s[12:13], 8
	s_mov_b64 s[20:21], 1
	s_delay_alu instid0(VALU_DEP_1)
	v_dual_mov_b32 v23, v2 :: v_dual_mov_b32 v22, v1
	s_wait_kmcnt 0x0
	s_add_nc_u64 s[22:23], s[2:3], 8
	s_mov_b32 s3, 0
.LBB0_2:                                ; =>This Inner Loop Header: Depth=1
	s_load_b64 s[24:25], s[22:23], 0x0
                                        ; implicit-def: $vgpr26_vgpr27
	s_mov_b32 s2, exec_lo
	s_wait_kmcnt 0x0
	v_or_b32_e32 v4, s25, v6
	s_delay_alu instid0(VALU_DEP_1)
	v_cmpx_ne_u64_e32 0, v[3:4]
	s_wait_alu 0xfffe
	s_xor_b32 s26, exec_lo, s2
	s_cbranch_execz .LBB0_4
; %bb.3:                                ;   in Loop: Header=BB0_2 Depth=1
	s_cvt_f32_u32 s2, s24
	s_cvt_f32_u32 s27, s25
	s_sub_nc_u64 s[30:31], 0, s[24:25]
	s_wait_alu 0xfffe
	s_delay_alu instid0(SALU_CYCLE_1) | instskip(SKIP_1) | instid1(SALU_CYCLE_2)
	s_fmamk_f32 s2, s27, 0x4f800000, s2
	s_wait_alu 0xfffe
	v_s_rcp_f32 s2, s2
	s_delay_alu instid0(TRANS32_DEP_1) | instskip(SKIP_1) | instid1(SALU_CYCLE_2)
	s_mul_f32 s2, s2, 0x5f7ffffc
	s_wait_alu 0xfffe
	s_mul_f32 s27, s2, 0x2f800000
	s_wait_alu 0xfffe
	s_delay_alu instid0(SALU_CYCLE_2) | instskip(SKIP_1) | instid1(SALU_CYCLE_2)
	s_trunc_f32 s27, s27
	s_wait_alu 0xfffe
	s_fmamk_f32 s2, s27, 0xcf800000, s2
	s_cvt_u32_f32 s29, s27
	s_wait_alu 0xfffe
	s_delay_alu instid0(SALU_CYCLE_1) | instskip(SKIP_1) | instid1(SALU_CYCLE_2)
	s_cvt_u32_f32 s28, s2
	s_wait_alu 0xfffe
	s_mul_u64 s[34:35], s[30:31], s[28:29]
	s_wait_alu 0xfffe
	s_mul_hi_u32 s37, s28, s35
	s_mul_i32 s36, s28, s35
	s_mul_hi_u32 s2, s28, s34
	s_mul_i32 s33, s29, s34
	s_wait_alu 0xfffe
	s_add_nc_u64 s[36:37], s[2:3], s[36:37]
	s_mul_hi_u32 s27, s29, s34
	s_mul_hi_u32 s38, s29, s35
	s_add_co_u32 s2, s36, s33
	s_wait_alu 0xfffe
	s_add_co_ci_u32 s2, s37, s27
	s_mul_i32 s34, s29, s35
	s_add_co_ci_u32 s35, s38, 0
	s_wait_alu 0xfffe
	s_add_nc_u64 s[34:35], s[2:3], s[34:35]
	s_wait_alu 0xfffe
	v_add_co_u32 v4, s2, s28, s34
	s_delay_alu instid0(VALU_DEP_1) | instskip(SKIP_1) | instid1(VALU_DEP_1)
	s_cmp_lg_u32 s2, 0
	s_add_co_ci_u32 s29, s29, s35
	v_readfirstlane_b32 s28, v4
	s_wait_alu 0xfffe
	s_delay_alu instid0(VALU_DEP_1)
	s_mul_u64 s[30:31], s[30:31], s[28:29]
	s_wait_alu 0xfffe
	s_mul_hi_u32 s35, s28, s31
	s_mul_i32 s34, s28, s31
	s_mul_hi_u32 s2, s28, s30
	s_mul_i32 s33, s29, s30
	s_wait_alu 0xfffe
	s_add_nc_u64 s[34:35], s[2:3], s[34:35]
	s_mul_hi_u32 s27, s29, s30
	s_mul_hi_u32 s28, s29, s31
	s_wait_alu 0xfffe
	s_add_co_u32 s2, s34, s33
	s_add_co_ci_u32 s2, s35, s27
	s_mul_i32 s30, s29, s31
	s_add_co_ci_u32 s31, s28, 0
	s_wait_alu 0xfffe
	s_add_nc_u64 s[30:31], s[2:3], s[30:31]
	s_wait_alu 0xfffe
	v_add_co_u32 v4, s2, v4, s30
	s_delay_alu instid0(VALU_DEP_1) | instskip(SKIP_1) | instid1(VALU_DEP_1)
	s_cmp_lg_u32 s2, 0
	s_add_co_ci_u32 s2, s29, s31
	v_mul_hi_u32 v14, v5, v4
	s_wait_alu 0xfffe
	v_mad_co_u64_u32 v[8:9], null, v5, s2, 0
	v_mad_co_u64_u32 v[10:11], null, v6, v4, 0
	;; [unrolled: 1-line block ×3, first 2 shown]
	s_delay_alu instid0(VALU_DEP_3) | instskip(SKIP_1) | instid1(VALU_DEP_4)
	v_add_co_u32 v4, vcc_lo, v14, v8
	s_wait_alu 0xfffd
	v_add_co_ci_u32_e32 v8, vcc_lo, 0, v9, vcc_lo
	s_delay_alu instid0(VALU_DEP_2) | instskip(SKIP_1) | instid1(VALU_DEP_2)
	v_add_co_u32 v4, vcc_lo, v4, v10
	s_wait_alu 0xfffd
	v_add_co_ci_u32_e32 v4, vcc_lo, v8, v11, vcc_lo
	s_wait_alu 0xfffd
	v_add_co_ci_u32_e32 v8, vcc_lo, 0, v13, vcc_lo
	s_delay_alu instid0(VALU_DEP_2) | instskip(SKIP_1) | instid1(VALU_DEP_2)
	v_add_co_u32 v4, vcc_lo, v4, v12
	s_wait_alu 0xfffd
	v_add_co_ci_u32_e32 v10, vcc_lo, 0, v8, vcc_lo
	s_delay_alu instid0(VALU_DEP_2) | instskip(SKIP_1) | instid1(VALU_DEP_3)
	v_mul_lo_u32 v11, s25, v4
	v_mad_co_u64_u32 v[8:9], null, s24, v4, 0
	v_mul_lo_u32 v12, s24, v10
	s_delay_alu instid0(VALU_DEP_2) | instskip(NEXT) | instid1(VALU_DEP_2)
	v_sub_co_u32 v8, vcc_lo, v5, v8
	v_add3_u32 v9, v9, v12, v11
	s_delay_alu instid0(VALU_DEP_1) | instskip(SKIP_1) | instid1(VALU_DEP_1)
	v_sub_nc_u32_e32 v11, v6, v9
	s_wait_alu 0xfffd
	v_subrev_co_ci_u32_e64 v11, s2, s25, v11, vcc_lo
	v_add_co_u32 v12, s2, v4, 2
	s_wait_alu 0xf1ff
	v_add_co_ci_u32_e64 v13, s2, 0, v10, s2
	v_sub_co_u32 v14, s2, v8, s24
	v_sub_co_ci_u32_e32 v9, vcc_lo, v6, v9, vcc_lo
	s_wait_alu 0xf1ff
	v_subrev_co_ci_u32_e64 v11, s2, 0, v11, s2
	s_delay_alu instid0(VALU_DEP_3) | instskip(NEXT) | instid1(VALU_DEP_3)
	v_cmp_le_u32_e32 vcc_lo, s24, v14
	v_cmp_eq_u32_e64 s2, s25, v9
	s_wait_alu 0xfffd
	v_cndmask_b32_e64 v14, 0, -1, vcc_lo
	v_cmp_le_u32_e32 vcc_lo, s25, v11
	s_wait_alu 0xfffd
	v_cndmask_b32_e64 v15, 0, -1, vcc_lo
	v_cmp_le_u32_e32 vcc_lo, s24, v8
	;; [unrolled: 3-line block ×3, first 2 shown]
	s_wait_alu 0xfffd
	v_cndmask_b32_e64 v16, 0, -1, vcc_lo
	v_cmp_eq_u32_e32 vcc_lo, s25, v11
	s_wait_alu 0xf1ff
	s_delay_alu instid0(VALU_DEP_2)
	v_cndmask_b32_e64 v8, v16, v8, s2
	s_wait_alu 0xfffd
	v_cndmask_b32_e32 v11, v15, v14, vcc_lo
	v_add_co_u32 v14, vcc_lo, v4, 1
	s_wait_alu 0xfffd
	v_add_co_ci_u32_e32 v15, vcc_lo, 0, v10, vcc_lo
	s_delay_alu instid0(VALU_DEP_3) | instskip(SKIP_2) | instid1(VALU_DEP_3)
	v_cmp_ne_u32_e32 vcc_lo, 0, v11
	s_wait_alu 0xfffd
	v_cndmask_b32_e32 v11, v14, v12, vcc_lo
	v_cndmask_b32_e32 v9, v15, v13, vcc_lo
	v_cmp_ne_u32_e32 vcc_lo, 0, v8
	s_wait_alu 0xfffd
	s_delay_alu instid0(VALU_DEP_2)
	v_dual_cndmask_b32 v26, v4, v11 :: v_dual_cndmask_b32 v27, v10, v9
.LBB0_4:                                ;   in Loop: Header=BB0_2 Depth=1
	s_wait_alu 0xfffe
	s_and_not1_saveexec_b32 s2, s26
	s_cbranch_execz .LBB0_6
; %bb.5:                                ;   in Loop: Header=BB0_2 Depth=1
	v_cvt_f32_u32_e32 v4, s24
	s_sub_co_i32 s26, 0, s24
	v_mov_b32_e32 v27, v3
	s_delay_alu instid0(VALU_DEP_2) | instskip(NEXT) | instid1(TRANS32_DEP_1)
	v_rcp_iflag_f32_e32 v4, v4
	v_mul_f32_e32 v4, 0x4f7ffffe, v4
	s_delay_alu instid0(VALU_DEP_1) | instskip(SKIP_1) | instid1(VALU_DEP_1)
	v_cvt_u32_f32_e32 v4, v4
	s_wait_alu 0xfffe
	v_mul_lo_u32 v8, s26, v4
	s_delay_alu instid0(VALU_DEP_1) | instskip(NEXT) | instid1(VALU_DEP_1)
	v_mul_hi_u32 v8, v4, v8
	v_add_nc_u32_e32 v4, v4, v8
	s_delay_alu instid0(VALU_DEP_1) | instskip(NEXT) | instid1(VALU_DEP_1)
	v_mul_hi_u32 v4, v5, v4
	v_mul_lo_u32 v8, v4, s24
	s_delay_alu instid0(VALU_DEP_1) | instskip(NEXT) | instid1(VALU_DEP_1)
	v_sub_nc_u32_e32 v8, v5, v8
	v_subrev_nc_u32_e32 v10, s24, v8
	v_cmp_le_u32_e32 vcc_lo, s24, v8
	s_wait_alu 0xfffd
	s_delay_alu instid0(VALU_DEP_2) | instskip(NEXT) | instid1(VALU_DEP_1)
	v_dual_cndmask_b32 v8, v8, v10 :: v_dual_add_nc_u32 v9, 1, v4
	v_cndmask_b32_e32 v4, v4, v9, vcc_lo
	s_delay_alu instid0(VALU_DEP_2) | instskip(NEXT) | instid1(VALU_DEP_2)
	v_cmp_le_u32_e32 vcc_lo, s24, v8
	v_add_nc_u32_e32 v9, 1, v4
	s_wait_alu 0xfffd
	s_delay_alu instid0(VALU_DEP_1)
	v_cndmask_b32_e32 v26, v4, v9, vcc_lo
.LBB0_6:                                ;   in Loop: Header=BB0_2 Depth=1
	s_wait_alu 0xfffe
	s_or_b32 exec_lo, exec_lo, s2
	v_mul_lo_u32 v4, v27, s24
	s_delay_alu instid0(VALU_DEP_2)
	v_mul_lo_u32 v10, v26, s25
	s_load_b64 s[26:27], s[18:19], 0x0
	v_mad_co_u64_u32 v[8:9], null, v26, s24, 0
	s_load_b64 s[24:25], s[16:17], 0x0
	s_add_nc_u64 s[20:21], s[20:21], 1
	s_add_nc_u64 s[16:17], s[16:17], 8
	s_wait_alu 0xfffe
	v_cmp_ge_u64_e64 s2, s[20:21], s[10:11]
	s_add_nc_u64 s[18:19], s[18:19], 8
	s_add_nc_u64 s[22:23], s[22:23], 8
	v_add3_u32 v4, v9, v10, v4
	v_sub_co_u32 v5, vcc_lo, v5, v8
	s_wait_alu 0xfffd
	s_delay_alu instid0(VALU_DEP_2) | instskip(SKIP_2) | instid1(VALU_DEP_1)
	v_sub_co_ci_u32_e32 v4, vcc_lo, v6, v4, vcc_lo
	s_and_b32 vcc_lo, exec_lo, s2
	s_wait_kmcnt 0x0
	v_mul_lo_u32 v6, s26, v4
	v_mul_lo_u32 v8, s27, v5
	v_mad_co_u64_u32 v[1:2], null, s26, v5, v[1:2]
	v_mul_lo_u32 v4, s24, v4
	v_mul_lo_u32 v9, s25, v5
	v_mad_co_u64_u32 v[22:23], null, s24, v5, v[22:23]
	s_delay_alu instid0(VALU_DEP_4) | instskip(NEXT) | instid1(VALU_DEP_2)
	v_add3_u32 v2, v8, v2, v6
	v_add3_u32 v23, v9, v23, v4
	s_wait_alu 0xfffe
	s_cbranch_vccnz .LBB0_9
; %bb.7:                                ;   in Loop: Header=BB0_2 Depth=1
	v_dual_mov_b32 v5, v26 :: v_dual_mov_b32 v6, v27
	s_branch .LBB0_2
.LBB0_8:
	v_dual_mov_b32 v23, v2 :: v_dual_mov_b32 v22, v1
	v_dual_mov_b32 v27, v6 :: v_dual_mov_b32 v26, v5
.LBB0_9:
	s_load_b64 s[0:1], s[0:1], 0x28
	v_mul_hi_u32 v4, 0x97b425f, v0
	v_and_b32_e32 v3, 3, v7
	s_lshl_b64 s[10:11], s[10:11], 3
                                        ; implicit-def: $vgpr24
	s_wait_alu 0xfffe
	s_add_nc_u64 s[2:3], s[14:15], s[10:11]
	s_wait_kmcnt 0x0
	v_cmp_gt_u64_e32 vcc_lo, s[0:1], v[26:27]
	v_cmp_le_u64_e64 s0, s[0:1], v[26:27]
	s_delay_alu instid0(VALU_DEP_1)
	s_and_saveexec_b32 s1, s0
	s_wait_alu 0xfffe
	s_xor_b32 s0, exec_lo, s1
; %bb.10:
	v_mul_u32_u24_e32 v1, 27, v4
                                        ; implicit-def: $vgpr4
	s_delay_alu instid0(VALU_DEP_1)
	v_sub_nc_u32_e32 v24, v0, v1
                                        ; implicit-def: $vgpr0
                                        ; implicit-def: $vgpr1_vgpr2
; %bb.11:
	s_wait_alu 0xfffe
	s_or_saveexec_b32 s1, s0
	s_load_b64 s[2:3], s[2:3], 0x0
	v_mul_u32_u24_e32 v3, 0x10f, v3
	s_delay_alu instid0(VALU_DEP_1)
	v_lshlrev_b32_e32 v33, 3, v3
	s_xor_b32 exec_lo, exec_lo, s1
	s_cbranch_execz .LBB0_15
; %bb.12:
	s_add_nc_u64 s[10:11], s[12:13], s[10:11]
	v_lshlrev_b64_e32 v[1:2], 3, v[1:2]
	s_load_b64 s[10:11], s[10:11], 0x0
	s_wait_kmcnt 0x0
	v_mul_lo_u32 v7, s11, v26
	v_mul_lo_u32 v8, s10, v27
	v_mad_co_u64_u32 v[5:6], null, s10, v26, 0
	s_delay_alu instid0(VALU_DEP_1) | instskip(SKIP_1) | instid1(VALU_DEP_2)
	v_add3_u32 v6, v6, v8, v7
	v_mul_u32_u24_e32 v7, 27, v4
	v_lshlrev_b64_e32 v[4:5], 3, v[5:6]
	s_delay_alu instid0(VALU_DEP_2) | instskip(NEXT) | instid1(VALU_DEP_1)
	v_sub_nc_u32_e32 v24, v0, v7
	v_lshlrev_b32_e32 v25, 3, v24
	s_delay_alu instid0(VALU_DEP_3) | instskip(SKIP_1) | instid1(VALU_DEP_4)
	v_add_co_u32 v0, s0, s4, v4
	s_wait_alu 0xf1ff
	v_add_co_ci_u32_e64 v4, s0, s5, v5, s0
	s_mov_b32 s4, exec_lo
	s_delay_alu instid0(VALU_DEP_2) | instskip(SKIP_1) | instid1(VALU_DEP_2)
	v_add_co_u32 v0, s0, v0, v1
	s_wait_alu 0xf1ff
	v_add_co_ci_u32_e64 v1, s0, v4, v2, s0
	v_add3_u32 v2, 0, v33, v25
	s_delay_alu instid0(VALU_DEP_3) | instskip(SKIP_1) | instid1(VALU_DEP_3)
	v_add_co_u32 v4, s0, v0, v25
	s_wait_alu 0xf1ff
	v_add_co_ci_u32_e64 v5, s0, 0, v1, s0
	s_clause 0x9
	global_load_b64 v[6:7], v[4:5], off
	global_load_b64 v[8:9], v[4:5], off offset:216
	global_load_b64 v[10:11], v[4:5], off offset:432
	;; [unrolled: 1-line block ×9, first 2 shown]
	s_wait_loadcnt 0x8
	ds_store_2addr_b64 v2, v[6:7], v[8:9] offset1:27
	s_wait_loadcnt 0x6
	ds_store_2addr_b64 v2, v[10:11], v[12:13] offset0:54 offset1:81
	s_wait_loadcnt 0x4
	ds_store_2addr_b64 v2, v[14:15], v[16:17] offset0:108 offset1:135
	;; [unrolled: 2-line block ×4, first 2 shown]
	v_cmpx_eq_u32_e32 26, v24
	s_cbranch_execz .LBB0_14
; %bb.13:
	global_load_b64 v[0:1], v[0:1], off offset:2160
	v_mov_b32_e32 v24, 26
	s_wait_loadcnt 0x0
	ds_store_b64 v2, v[0:1] offset:1952
.LBB0_14:
	s_wait_alu 0xfffe
	s_or_b32 exec_lo, exec_lo, s4
.LBB0_15:
	s_delay_alu instid0(SALU_CYCLE_1)
	s_or_b32 exec_lo, exec_lo, s1
	v_lshl_add_u32 v32, v3, 3, 0
	v_lshlrev_b32_e32 v0, 3, v24
	global_wb scope:SCOPE_SE
	s_wait_dscnt 0x0
	s_wait_kmcnt 0x0
	s_barrier_signal -1
	s_barrier_wait -1
	global_inv scope:SCOPE_SE
	v_add_nc_u32_e32 v34, v32, v0
	v_sub_nc_u32_e32 v4, v32, v0
	s_mov_b32 s1, exec_lo
	ds_load_b32 v1, v34
	ds_load_b32 v2, v4 offset:2160
	s_wait_dscnt 0x0
	v_dual_add_f32 v0, v2, v1 :: v_dual_sub_f32 v1, v1, v2
                                        ; implicit-def: $vgpr2_vgpr3
	v_cmpx_ne_u32_e32 0, v24
	s_wait_alu 0xfffe
	s_xor_b32 s1, exec_lo, s1
	s_cbranch_execz .LBB0_17
; %bb.16:
	v_mov_b32_e32 v25, 0
	s_delay_alu instid0(VALU_DEP_1) | instskip(NEXT) | instid1(VALU_DEP_1)
	v_lshlrev_b64_e32 v[2:3], 3, v[24:25]
	v_add_co_u32 v2, s0, s8, v2
	s_wait_alu 0xf1ff
	s_delay_alu instid0(VALU_DEP_2)
	v_add_co_ci_u32_e64 v3, s0, s9, v3, s0
	global_load_b64 v[2:3], v[2:3], off offset:2080
	ds_load_b32 v5, v4 offset:2164
	ds_load_b32 v6, v34 offset:4
	s_wait_dscnt 0x0
	v_add_f32_e32 v9, v5, v6
	v_sub_f32_e32 v5, v6, v5
	s_wait_loadcnt 0x0
	s_delay_alu instid0(VALU_DEP_1) | instskip(SKIP_2) | instid1(VALU_DEP_3)
	v_fma_f32 v8, v9, v3, -v5
	v_fma_f32 v10, v1, v3, v0
	v_fma_f32 v7, -v1, v3, v0
                                        ; implicit-def: $vgpr0
	v_fmac_f32_e32 v8, v1, v2
	v_fma_f32 v6, v9, v3, v5
	s_delay_alu instid0(VALU_DEP_4) | instskip(NEXT) | instid1(VALU_DEP_2)
	v_fma_f32 v5, -v2, v9, v10
	v_dual_fmac_f32 v7, v2, v9 :: v_dual_fmac_f32 v6, v1, v2
	v_dual_mov_b32 v2, v24 :: v_dual_mov_b32 v3, v25
	ds_store_b64 v34, v[5:6]
	ds_store_b64 v4, v[7:8] offset:2160
.LBB0_17:
	s_wait_alu 0xfffe
	s_and_not1_saveexec_b32 s0, s1
	s_cbranch_execz .LBB0_19
; %bb.18:
	ds_store_b64 v34, v[0:1]
	ds_load_b64 v[0:1], v32 offset:1080
	v_mov_b32_e32 v2, 0
	s_wait_dscnt 0x0
	v_dual_mov_b32 v3, 0 :: v_dual_add_f32 v0, v0, v0
	v_mul_f32_e32 v1, -2.0, v1
	ds_store_b64 v32, v[0:1] offset:1080
.LBB0_19:
	s_wait_alu 0xfffe
	s_or_b32 exec_lo, exec_lo, s0
	v_lshlrev_b64_e32 v[0:1], 3, v[2:3]
	s_add_nc_u64 s[0:1], s[8:9], 0x820
	v_lshl_add_u32 v18, v24, 3, 0
	s_wait_alu 0xfffe
	s_delay_alu instid0(VALU_DEP_2)
	v_add_co_u32 v0, s0, s0, v0
	s_wait_alu 0xf1ff
	v_add_co_ci_u32_e64 v1, s0, s1, v1, s0
	v_add_nc_u32_e32 v25, v18, v33
	v_mad_u32_u24 v35, 0x48, v24, v18
	v_cmp_gt_u32_e64 s0, 9, v24
	s_clause 0x3
	global_load_b64 v[2:3], v[0:1], off offset:216
	global_load_b64 v[5:6], v[0:1], off offset:432
	;; [unrolled: 1-line block ×4, first 2 shown]
	ds_load_b64 v[9:10], v34 offset:216
	ds_load_b64 v[11:12], v4 offset:1944
	s_wait_dscnt 0x0
	v_dual_add_f32 v13, v9, v11 :: v_dual_add_nc_u32 v20, v35, v33
	v_dual_add_f32 v14, v12, v10 :: v_dual_sub_f32 v15, v9, v11
	v_sub_f32_e32 v9, v10, v12
	s_wait_loadcnt 0x3
	s_delay_alu instid0(VALU_DEP_1) | instskip(NEXT) | instid1(VALU_DEP_3)
	v_fma_f32 v10, v14, v3, v9
	v_fma_f32 v16, v15, v3, v13
	v_fma_f32 v11, -v15, v3, v13
	s_delay_alu instid0(VALU_DEP_3) | instskip(SKIP_1) | instid1(VALU_DEP_4)
	v_fmac_f32_e32 v10, v15, v2
	v_fma_f32 v12, v14, v3, -v9
	v_fma_f32 v9, -v2, v14, v16
	s_delay_alu instid0(VALU_DEP_4) | instskip(NEXT) | instid1(VALU_DEP_3)
	v_fmac_f32_e32 v11, v2, v14
	v_fmac_f32_e32 v12, v15, v2
	ds_store_b64 v34, v[9:10] offset:216
	ds_store_b64 v4, v[11:12] offset:1944
	ds_load_b64 v[2:3], v34 offset:432
	ds_load_b64 v[9:10], v4 offset:1728
	s_wait_dscnt 0x0
	v_add_f32_e32 v11, v2, v9
	v_sub_f32_e32 v13, v2, v9
	v_add_f32_e32 v12, v10, v3
	v_sub_f32_e32 v2, v3, v10
	s_wait_loadcnt 0x2
	s_delay_alu instid0(VALU_DEP_3) | instskip(SKIP_1) | instid1(VALU_DEP_3)
	v_fma_f32 v14, v13, v6, v11
	v_fma_f32 v9, -v13, v6, v11
	v_fma_f32 v3, v12, v6, v2
	s_delay_alu instid0(VALU_DEP_1) | instskip(SKIP_3) | instid1(VALU_DEP_3)
	v_fmac_f32_e32 v3, v13, v5
	v_fma_f32 v10, v12, v6, -v2
	v_fma_f32 v2, -v5, v12, v14
	v_fmac_f32_e32 v9, v5, v12
	v_fmac_f32_e32 v10, v13, v5
	ds_store_b64 v34, v[2:3] offset:432
	ds_store_b64 v4, v[9:10] offset:1728
	ds_load_b64 v[2:3], v34 offset:648
	ds_load_b64 v[5:6], v4 offset:1512
	s_wait_dscnt 0x0
	v_add_f32_e32 v10, v6, v3
	v_sub_f32_e32 v11, v2, v5
	v_dual_add_f32 v9, v2, v5 :: v_dual_sub_f32 v2, v3, v6
	s_wait_loadcnt 0x1
	s_delay_alu instid0(VALU_DEP_1) | instskip(SKIP_1) | instid1(VALU_DEP_2)
	v_fma_f32 v6, v10, v8, -v2
	v_fma_f32 v3, v10, v8, v2
	v_fmac_f32_e32 v6, v11, v7
	v_fma_f32 v12, v11, v8, v9
	v_fma_f32 v5, -v11, v8, v9
	s_delay_alu instid0(VALU_DEP_4) | instskip(NEXT) | instid1(VALU_DEP_3)
	v_fmac_f32_e32 v3, v11, v7
	v_fma_f32 v2, -v7, v10, v12
	s_delay_alu instid0(VALU_DEP_3)
	v_fmac_f32_e32 v5, v7, v10
	ds_store_b64 v34, v[2:3] offset:648
	ds_store_b64 v4, v[5:6] offset:1512
	ds_load_b64 v[2:3], v34 offset:864
	ds_load_b64 v[5:6], v4 offset:1296
	s_wait_dscnt 0x0
	v_add_f32_e32 v8, v6, v3
	v_add_f32_e32 v7, v2, v5
	v_sub_f32_e32 v9, v2, v5
	v_sub_f32_e32 v3, v3, v6
	s_wait_loadcnt 0x0
	s_delay_alu instid0(VALU_DEP_2) | instskip(NEXT) | instid1(VALU_DEP_2)
	v_fma_f32 v10, v9, v1, v7
	v_fma_f32 v2, v8, v1, v3
	v_fma_f32 v5, -v9, v1, v7
	v_fma_f32 v6, v8, v1, -v3
	s_delay_alu instid0(VALU_DEP_4) | instskip(NEXT) | instid1(VALU_DEP_4)
	v_fma_f32 v1, -v0, v8, v10
	v_fmac_f32_e32 v2, v9, v0
	s_delay_alu instid0(VALU_DEP_4) | instskip(NEXT) | instid1(VALU_DEP_4)
	v_fmac_f32_e32 v5, v0, v8
	v_fmac_f32_e32 v6, v9, v0
	ds_store_b64 v34, v[1:2] offset:864
	ds_store_b64 v4, v[5:6] offset:1296
	global_wb scope:SCOPE_SE
	s_wait_dscnt 0x0
	s_barrier_signal -1
	s_barrier_wait -1
	global_inv scope:SCOPE_SE
	global_wb scope:SCOPE_SE
	s_barrier_signal -1
	s_barrier_wait -1
	global_inv scope:SCOPE_SE
	ds_load_2addr_b64 v[0:3], v25 offset0:27 offset1:54
	ds_load_2addr_b64 v[4:7], v25 offset0:81 offset1:108
	ds_load_b64 v[16:17], v34
	ds_load_2addr_b64 v[8:11], v25 offset0:135 offset1:162
	ds_load_2addr_b64 v[12:15], v25 offset0:189 offset1:216
	s_wait_dscnt 0x3
	v_sub_f32_e32 v31, v2, v6
	s_wait_dscnt 0x2
	v_add_f32_e32 v21, v16, v2
	s_wait_dscnt 0x0
	v_dual_add_f32 v28, v6, v10 :: v_dual_sub_f32 v29, v3, v15
	v_sub_f32_e32 v44, v15, v11
	ds_load_b64 v[18:19], v25 offset:1944
	v_dual_add_f32 v37, v2, v14 :: v_dual_sub_f32 v54, v8, v4
	v_sub_f32_e32 v30, v7, v11
	v_dual_sub_f32 v36, v14, v10 :: v_dual_add_f32 v41, v7, v11
	v_dual_sub_f32 v38, v6, v2 :: v_dual_sub_f32 v43, v3, v7
	v_dual_sub_f32 v39, v10, v14 :: v_dual_add_f32 v56, v1, v5
	v_add_f32_e32 v40, v17, v3
	v_dual_sub_f32 v2, v2, v14 :: v_dual_add_f32 v45, v3, v15
	v_dual_sub_f32 v42, v6, v10 :: v_dual_sub_f32 v3, v7, v3
	v_dual_sub_f32 v46, v11, v15 :: v_dual_add_f32 v47, v0, v4
	v_add_f32_e32 v48, v8, v12
	v_sub_f32_e32 v50, v9, v13
	v_add_f32_e32 v6, v21, v6
	s_wait_dscnt 0x0
	v_add_f32_e32 v53, v4, v18
	v_fma_f32 v21, -0.5, v28, v16
	v_add_f32_e32 v28, v31, v36
	v_fma_f32 v16, -0.5, v37, v16
	v_add_f32_e32 v61, v5, v19
	v_dual_sub_f32 v49, v5, v19 :: v_dual_sub_f32 v52, v18, v12
	v_dual_sub_f32 v51, v4, v8 :: v_dual_sub_f32 v62, v13, v19
	v_dual_add_f32 v57, v9, v13 :: v_dual_sub_f32 v4, v4, v18
	v_dual_sub_f32 v58, v8, v12 :: v_dual_sub_f32 v59, v5, v9
	v_dual_sub_f32 v60, v19, v13 :: v_dual_sub_f32 v55, v12, v18
	v_dual_add_f32 v8, v47, v8 :: v_dual_sub_f32 v5, v9, v5
	v_add_f32_e32 v31, v38, v39
	v_add_f32_e32 v7, v40, v7
	v_fma_f32 v36, -0.5, v41, v17
	v_add_f32_e32 v37, v43, v44
	v_add_f32_e32 v3, v3, v46
	v_fma_f32 v38, -0.5, v48, v0
	v_fma_f32 v40, -0.5, v53, v0
	v_dual_add_f32 v9, v56, v9 :: v_dual_fmamk_f32 v46, v30, 0x3f737871, v16
	v_fma_f32 v44, -0.5, v61, v1
	v_dual_fmac_f32 v16, 0xbf737871, v30 :: v_dual_fmac_f32 v17, -0.5, v45
	v_dual_add_f32 v39, v51, v52 :: v_dual_add_f32 v0, v54, v55
	v_fma_f32 v41, -0.5, v57, v1
	v_add_f32_e32 v1, v5, v62
	v_dual_add_f32 v5, v6, v10 :: v_dual_fmac_f32 v46, 0xbf167918, v29
	v_fmamk_f32 v45, v29, 0xbf737871, v21
	v_dual_fmac_f32 v21, 0x3f737871, v29 :: v_dual_add_f32 v6, v7, v11
	v_fmamk_f32 v48, v42, 0xbf737871, v17
	v_fmac_f32_e32 v17, 0x3f737871, v42
	v_dual_add_f32 v7, v8, v12 :: v_dual_fmac_f32 v16, 0x3f167918, v29
	v_fmamk_f32 v47, v2, 0x3f737871, v36
	v_fmac_f32_e32 v36, 0xbf737871, v2
	v_fmamk_f32 v8, v49, 0xbf737871, v38
	v_fmamk_f32 v10, v50, 0x3f737871, v40
	v_dual_fmac_f32 v40, 0xbf737871, v50 :: v_dual_add_f32 v9, v9, v13
	s_delay_alu instid0(VALU_DEP_4)
	v_fmac_f32_e32 v36, 0xbf167918, v42
	v_fmamk_f32 v12, v58, 0xbf737871, v44
	v_fmac_f32_e32 v44, 0x3f737871, v58
	v_dual_add_f32 v5, v5, v14 :: v_dual_fmac_f32 v10, 0xbf167918, v49
	v_fmac_f32_e32 v45, 0xbf167918, v30
	v_dual_fmac_f32 v21, 0x3f167918, v30 :: v_dual_fmac_f32 v40, 0x3f167918, v49
	v_add_f32_e32 v6, v6, v15
	v_fmac_f32_e32 v48, 0x3f167918, v2
	v_fmac_f32_e32 v17, 0xbf167918, v2
	v_dual_add_f32 v2, v7, v18 :: v_dual_fmamk_f32 v11, v4, 0x3f737871, v41
	v_dual_fmac_f32 v47, 0x3f167918, v42 :: v_dual_fmac_f32 v12, 0x3f167918, v4
	v_dual_add_f32 v7, v9, v19 :: v_dual_fmac_f32 v8, 0xbf167918, v50
	v_fmac_f32_e32 v44, 0xbf167918, v4
	v_dual_add_f32 v43, v59, v60 :: v_dual_fmac_f32 v38, 0x3f737871, v49
	v_dual_fmac_f32 v45, 0x3e9e377a, v28 :: v_dual_fmac_f32 v46, 0x3e9e377a, v31
	v_dual_fmac_f32 v47, 0x3e9e377a, v37 :: v_dual_fmac_f32 v48, 0x3e9e377a, v3
	v_fmac_f32_e32 v10, 0x3e9e377a, v0
	v_fmac_f32_e32 v40, 0x3e9e377a, v0
	;; [unrolled: 1-line block ×4, first 2 shown]
	v_add_f32_e32 v0, v5, v2
	v_fmac_f32_e32 v11, 0x3f167918, v58
	v_add_f32_e32 v1, v6, v7
	v_dual_fmac_f32 v8, 0x3e9e377a, v39 :: v_dual_mul_f32 v29, 0x3e9e377a, v12
	v_dual_fmac_f32 v41, 0xbf737871, v4 :: v_dual_sub_f32 v2, v5, v2
	s_delay_alu instid0(VALU_DEP_4) | instskip(NEXT) | instid1(VALU_DEP_3)
	v_fmac_f32_e32 v11, 0x3e9e377a, v43
	v_mul_f32_e32 v19, 0x3f167918, v8
	v_dual_fmac_f32 v21, 0x3e9e377a, v28 :: v_dual_fmac_f32 v16, 0x3e9e377a, v31
	v_mul_f32_e32 v15, 0xbf737871, v44
	v_fmac_f32_e32 v38, 0x3f167918, v50
	s_delay_alu instid0(VALU_DEP_4)
	v_fmac_f32_e32 v19, 0x3f4f1bbd, v11
	v_mul_f32_e32 v30, 0xbe9e377a, v44
	v_fmac_f32_e32 v29, 0x3f737871, v10
	v_fmac_f32_e32 v15, 0xbe9e377a, v40
	;; [unrolled: 1-line block ×3, first 2 shown]
	v_dual_add_f32 v5, v47, v19 :: v_dual_mul_f32 v14, 0xbf737871, v12
	global_wb scope:SCOPE_SE
	s_barrier_signal -1
	s_barrier_wait -1
	global_inv scope:SCOPE_SE
	v_fmac_f32_e32 v14, 0x3e9e377a, v10
	v_mul_f32_e32 v13, 0xbf167918, v11
	s_delay_alu instid0(VALU_DEP_1) | instskip(SKIP_1) | instid1(VALU_DEP_1)
	v_dual_fmac_f32 v13, 0x3f4f1bbd, v8 :: v_dual_add_f32 v8, v16, v15
	v_fmac_f32_e32 v41, 0x3e9e377a, v43
	v_mul_f32_e32 v18, 0xbf167918, v41
	v_dual_fmac_f32 v36, 0x3e9e377a, v37 :: v_dual_fmac_f32 v17, 0x3e9e377a, v3
	v_sub_f32_e32 v3, v6, v7
	v_dual_fmac_f32 v38, 0x3e9e377a, v39 :: v_dual_add_f32 v7, v48, v29
	s_delay_alu instid0(VALU_DEP_1) | instskip(NEXT) | instid1(VALU_DEP_1)
	v_dual_mul_f32 v31, 0xbf4f1bbd, v41 :: v_dual_fmac_f32 v18, 0xbf4f1bbd, v38
	v_sub_f32_e32 v28, v21, v18
	s_delay_alu instid0(VALU_DEP_2)
	v_dual_fmac_f32 v31, 0x3f167918, v38 :: v_dual_sub_f32 v16, v16, v15
	v_dual_sub_f32 v15, v48, v29 :: v_dual_add_f32 v6, v46, v14
	v_sub_f32_e32 v14, v46, v14
	v_add_f32_e32 v4, v45, v13
	v_dual_sub_f32 v12, v45, v13 :: v_dual_sub_f32 v13, v47, v19
	v_fmac_f32_e32 v30, 0x3f737871, v40
	v_dual_add_f32 v10, v21, v18 :: v_dual_add_f32 v11, v36, v31
	v_sub_f32_e32 v29, v36, v31
                                        ; implicit-def: $vgpr21
	s_delay_alu instid0(VALU_DEP_3)
	v_add_f32_e32 v9, v17, v30
	v_sub_f32_e32 v17, v17, v30
	ds_store_2addr_b64 v20, v[0:1], v[4:5] offset1:1
	ds_store_2addr_b64 v20, v[6:7], v[8:9] offset0:2 offset1:3
	ds_store_2addr_b64 v20, v[10:11], v[2:3] offset0:4 offset1:5
	;; [unrolled: 1-line block ×4, first 2 shown]
	global_wb scope:SCOPE_SE
	s_wait_dscnt 0x0
	s_barrier_signal -1
	s_barrier_wait -1
	global_inv scope:SCOPE_SE
	ds_load_b64 v[30:31], v34
	ds_load_2addr_b64 v[10:13], v25 offset0:90 offset1:117
	ds_load_2addr_b64 v[6:9], v25 offset0:144 offset1:180
	;; [unrolled: 1-line block ×4, first 2 shown]
                                        ; implicit-def: $vgpr1
	s_and_saveexec_b32 s1, s0
	s_cbranch_execz .LBB0_21
; %bb.20:
	ds_load_2addr_b64 v[18:21], v25 offset0:81 offset1:171
	ds_load_b64 v[0:1], v25 offset:2088
	s_wait_dscnt 0x1
	v_dual_mov_b32 v29, v19 :: v_dual_mov_b32 v28, v18
.LBB0_21:
	s_wait_alu 0xfffe
	s_or_b32 exec_lo, exec_lo, s1
	v_and_b32_e32 v18, 0xff, v24
	v_add_nc_u32_e32 v38, 27, v24
	v_add_nc_u32_e32 v37, 54, v24
	s_delay_alu instid0(VALU_DEP_3) | instskip(NEXT) | instid1(VALU_DEP_3)
	v_mul_lo_u16 v18, 0xcd, v18
	v_and_b32_e32 v19, 0xff, v38
	s_delay_alu instid0(VALU_DEP_3) | instskip(NEXT) | instid1(VALU_DEP_3)
	v_and_b32_e32 v40, 0xff, v37
	v_lshrrev_b16 v57, 11, v18
	s_delay_alu instid0(VALU_DEP_3) | instskip(NEXT) | instid1(VALU_DEP_3)
	v_mul_lo_u16 v18, 0xcd, v19
	v_mul_lo_u16 v41, 0xcd, v40
	s_delay_alu instid0(VALU_DEP_3) | instskip(NEXT) | instid1(VALU_DEP_3)
	v_mul_lo_u16 v19, v57, 10
	v_lshrrev_b16 v58, 11, v18
	s_delay_alu instid0(VALU_DEP_3) | instskip(SKIP_1) | instid1(VALU_DEP_4)
	v_lshrrev_b16 v59, 11, v41
	v_and_b32_e32 v57, 0xffff, v57
	v_sub_nc_u16 v18, v24, v19
	s_delay_alu instid0(VALU_DEP_4) | instskip(NEXT) | instid1(VALU_DEP_3)
	v_mul_lo_u16 v41, v58, 10
	v_mad_u32_u24 v57, 0xf0, v57, 0
	s_delay_alu instid0(VALU_DEP_3) | instskip(NEXT) | instid1(VALU_DEP_3)
	v_and_b32_e32 v60, 0xff, v18
	v_sub_nc_u16 v41, v38, v41
	s_delay_alu instid0(VALU_DEP_2) | instskip(NEXT) | instid1(VALU_DEP_2)
	v_lshlrev_b32_e32 v42, 4, v60
	v_and_b32_e32 v61, 0xff, v41
	global_load_b128 v[41:44], v42, s[8:9]
	v_lshlrev_b32_e32 v45, 4, v61
	global_load_b128 v[45:48], v45, s[8:9]
	v_lshlrev_b32_e32 v60, 3, v60
	v_add_nc_u32_e32 v36, 0x51, v24
	s_delay_alu instid0(VALU_DEP_2) | instskip(SKIP_1) | instid1(VALU_DEP_3)
	v_add3_u32 v57, v57, v60, v33
	v_lshlrev_b32_e32 v60, 3, v61
	v_and_b32_e32 v39, 0xff, v36
	s_wait_loadcnt_dscnt 0x102
	v_mul_f32_e32 v61, v44, v9
	v_mul_f32_e32 v44, v44, v8
	s_delay_alu instid0(VALU_DEP_2) | instskip(NEXT) | instid1(VALU_DEP_2)
	v_dual_fmac_f32 v61, v43, v8 :: v_dual_and_b32 v58, 0xffff, v58
	v_fma_f32 v8, v43, v9, -v44
	s_wait_loadcnt 0x0
	v_mul_f32_e32 v9, v46, v13
	s_delay_alu instid0(VALU_DEP_3) | instskip(NEXT) | instid1(VALU_DEP_2)
	v_mad_u32_u24 v58, 0xf0, v58, 0
	v_fmac_f32_e32 v9, v45, v12
	s_delay_alu instid0(VALU_DEP_2) | instskip(SKIP_3) | instid1(VALU_DEP_3)
	v_add3_u32 v58, v58, v60, v33
	v_mul_f32_e32 v60, v42, v11
	v_mul_f32_e32 v42, v42, v10
	v_mul_lo_u16 v19, 0xcd, v39
	v_fmac_f32_e32 v60, v41, v10
	s_delay_alu instid0(VALU_DEP_3) | instskip(NEXT) | instid1(VALU_DEP_3)
	v_fma_f32 v10, v41, v11, -v42
	v_lshrrev_b16 v18, 11, v19
	v_mul_lo_u16 v19, v59, 10
	v_and_b32_e32 v59, 0xffff, v59
	v_mul_f32_e32 v11, v46, v12
	s_wait_dscnt 0x0
	v_mul_f32_e32 v41, v48, v14
	v_mul_lo_u16 v18, v18, 10
	v_sub_nc_u16 v19, v37, v19
	v_mad_u32_u24 v59, 0xf0, v59, 0
	v_fma_f32 v11, v45, v13, -v11
	v_fma_f32 v13, v47, v15, -v41
	s_delay_alu instid0(VALU_DEP_4) | instskip(NEXT) | instid1(VALU_DEP_3)
	v_and_b32_e32 v19, 0xff, v19
	v_add_f32_e32 v41, v3, v11
	s_delay_alu instid0(VALU_DEP_2) | instskip(SKIP_1) | instid1(VALU_DEP_1)
	v_lshlrev_b32_e32 v49, 4, v19
	v_lshlrev_b32_e32 v19, 3, v19
	v_add3_u32 v59, v59, v19, v33
	v_mul_f32_e32 v19, v48, v15
	v_sub_nc_u16 v18, v36, v18
	s_delay_alu instid0(VALU_DEP_2) | instskip(NEXT) | instid1(VALU_DEP_1)
	v_fmac_f32_e32 v19, v47, v14
	v_dual_sub_f32 v45, v9, v19 :: v_dual_and_b32 v18, 0xff, v18
	s_delay_alu instid0(VALU_DEP_1)
	v_lshlrev_b32_e32 v53, 4, v18
	s_clause 0x1
	global_load_b128 v[49:52], v49, s[8:9]
	global_load_b128 v[53:56], v53, s[8:9]
	global_wb scope:SCOPE_SE
	s_wait_loadcnt 0x0
	s_barrier_signal -1
	s_barrier_wait -1
	global_inv scope:SCOPE_SE
	v_mul_f32_e32 v42, v50, v7
	v_dual_mul_f32 v43, v50, v6 :: v_dual_mul_f32 v44, v52, v17
	v_mul_f32_e32 v46, v52, v16
	v_mul_f32_e32 v52, v1, v56
	;; [unrolled: 1-line block ×5, first 2 shown]
	v_fma_f32 v12, v49, v7, -v43
	v_fmac_f32_e32 v44, v51, v16
	v_fma_f32 v15, v51, v17, -v46
	v_dual_fmac_f32 v48, v20, v53 :: v_dual_add_f32 v17, v31, v10
	v_fma_f32 v14, v21, v53, -v50
	v_fmac_f32_e32 v52, v0, v55
	v_fma_f32 v1, v1, v55, -v54
	v_dual_add_f32 v0, v30, v60 :: v_dual_add_f32 v7, v60, v61
	v_sub_f32_e32 v16, v10, v8
	v_dual_add_f32 v10, v10, v8 :: v_dual_add_f32 v43, v11, v13
	v_dual_fmac_f32 v42, v49, v6 :: v_dual_sub_f32 v21, v11, v13
	v_sub_f32_e32 v20, v60, v61
	v_fma_f32 v30, -0.5, v7, v30
	v_add_f32_e32 v7, v17, v8
	v_fmac_f32_e32 v31, -0.5, v10
	v_dual_add_f32 v17, v9, v19 :: v_dual_add_f32 v6, v0, v61
	v_add_f32_e32 v47, v42, v44
	v_dual_add_f32 v0, v2, v9 :: v_dual_sub_f32 v49, v12, v15
	v_dual_add_f32 v50, v5, v12 :: v_dual_add_f32 v51, v12, v15
	v_dual_add_f32 v54, v48, v52 :: v_dual_add_f32 v11, v41, v13
	v_add_f32_e32 v60, v14, v1
	v_dual_add_f32 v46, v4, v42 :: v_dual_sub_f32 v55, v14, v1
	v_dual_sub_f32 v42, v42, v44 :: v_dual_fmamk_f32 v9, v20, 0x3f5db3d7, v31
	v_dual_add_f32 v53, v28, v48 :: v_dual_add_f32 v56, v29, v14
	v_dual_sub_f32 v48, v48, v52 :: v_dual_add_f32 v15, v50, v15
	v_dual_fmac_f32 v31, 0xbf5db3d7, v20 :: v_dual_add_f32 v10, v0, v19
	v_dual_fmac_f32 v29, -0.5, v60 :: v_dual_fmac_f32 v28, -0.5, v54
	v_fma_f32 v12, -0.5, v17, v2
	v_fma_f32 v13, -0.5, v43, v3
	v_dual_fmamk_f32 v8, v16, 0xbf5db3d7, v30 :: v_dual_fmac_f32 v5, -0.5, v51
	v_fma_f32 v4, -0.5, v47, v4
	v_dual_fmac_f32 v30, 0x3f5db3d7, v16 :: v_dual_add_f32 v1, v56, v1
	v_dual_add_f32 v0, v53, v52 :: v_dual_fmamk_f32 v3, v48, 0x3f5db3d7, v29
	v_dual_fmamk_f32 v2, v55, 0xbf5db3d7, v28 :: v_dual_fmac_f32 v29, 0xbf5db3d7, v48
	v_fmac_f32_e32 v28, 0x3f5db3d7, v55
	v_dual_add_f32 v14, v46, v44 :: v_dual_fmamk_f32 v17, v45, 0x3f5db3d7, v13
	v_fmamk_f32 v16, v21, 0xbf5db3d7, v12
	v_fmac_f32_e32 v12, 0x3f5db3d7, v21
	v_fmac_f32_e32 v13, 0xbf5db3d7, v45
	v_fmamk_f32 v19, v49, 0xbf5db3d7, v4
	v_fmamk_f32 v20, v42, 0x3f5db3d7, v5
	v_fmac_f32_e32 v5, 0xbf5db3d7, v42
	v_fmac_f32_e32 v4, 0x3f5db3d7, v49
	ds_store_2addr_b64 v57, v[6:7], v[8:9] offset1:10
	ds_store_b64 v57, v[30:31] offset:160
	ds_store_2addr_b64 v58, v[10:11], v[16:17] offset1:10
	ds_store_b64 v58, v[12:13] offset:160
	;; [unrolled: 2-line block ×3, first 2 shown]
	s_and_saveexec_b32 s1, s0
	s_cbranch_execz .LBB0_23
; %bb.22:
	v_lshlrev_b32_e32 v4, 3, v18
	s_delay_alu instid0(VALU_DEP_1)
	v_add3_u32 v4, 0, v4, v33
	ds_store_2addr_b64 v4, v[0:1], v[2:3] offset0:240 offset1:250
	ds_store_b64 v4, v[28:29] offset:2080
.LBB0_23:
	s_wait_alu 0xfffe
	s_or_b32 exec_lo, exec_lo, s1
	global_wb scope:SCOPE_SE
	s_wait_dscnt 0x0
	s_barrier_signal -1
	s_barrier_wait -1
	global_inv scope:SCOPE_SE
	ds_load_b64 v[20:21], v34
	ds_load_2addr_b64 v[16:19], v25 offset0:90 offset1:117
	ds_load_2addr_b64 v[8:11], v25 offset0:144 offset1:180
	;; [unrolled: 1-line block ×4, first 2 shown]
	s_and_saveexec_b32 s1, s0
	s_cbranch_execz .LBB0_25
; %bb.24:
	ds_load_2addr_b64 v[0:3], v25 offset0:81 offset1:171
	ds_load_b64 v[28:29], v25 offset:2088
.LBB0_25:
	s_wait_alu 0xfffe
	s_or_b32 exec_lo, exec_lo, s1
	v_dual_mov_b32 v41, 0 :: v_dual_add_nc_u32 v30, -3, v24
	v_cmp_gt_u32_e64 s1, 3, v24
	v_mul_lo_u16 v31, 0x89, v40
	v_lshlrev_b32_e32 v40, 1, v24
	v_mul_lo_u16 v39, 0x89, v39
	s_wait_alu 0xf1ff
	v_cndmask_b32_e64 v56, v30, v38, s1
	v_lshrrev_b16 v57, 12, v31
	v_lshlrev_b64_e32 v[30:31], 3, v[40:41]
	v_lshrrev_b16 v39, 12, v39
	s_delay_alu instid0(VALU_DEP_4) | instskip(NEXT) | instid1(VALU_DEP_4)
	v_lshlrev_b32_e32 v40, 1, v56
	v_mul_lo_u16 v42, v57, 30
	s_delay_alu instid0(VALU_DEP_4) | instskip(NEXT) | instid1(VALU_DEP_3)
	v_add_co_u32 v30, s1, s8, v30
	v_lshlrev_b64_e32 v[44:45], 3, v[40:41]
	s_wait_alu 0xf1ff
	v_add_co_ci_u32_e64 v31, s1, s9, v31, s1
	v_sub_nc_u16 v46, v37, v42
	v_mul_lo_u16 v39, v39, 30
	s_delay_alu instid0(VALU_DEP_4)
	v_add_co_u32 v44, s1, s8, v44
	global_load_b128 v[40:43], v[30:31], off offset:160
	s_wait_alu 0xf1ff
	v_add_co_ci_u32_e64 v45, s1, s9, v45, s1
	v_and_b32_e32 v58, 0xff, v46
	v_cmp_lt_u32_e64 s1, 2, v24
	v_sub_nc_u16 v39, v36, v39
	global_load_b128 v[44:47], v[44:45], off offset:160
	v_lshlrev_b32_e32 v56, 3, v56
	v_and_b32_e32 v57, 0xffff, v57
	s_wait_alu 0xf1ff
	v_cndmask_b32_e64 v59, 0, 0x2d0, s1
	s_delay_alu instid0(VALU_DEP_1)
	v_add_nc_u32_e32 v59, 0, v59
	s_wait_loadcnt_dscnt 0x102
	v_mul_f32_e32 v60, v43, v11
	v_and_b32_e32 v39, 0xff, v39
	v_mul_f32_e32 v43, v43, v10
	v_mad_u32_u24 v57, 0x2d0, v57, 0
	s_delay_alu instid0(VALU_DEP_4)
	v_fmac_f32_e32 v60, v42, v10
	s_wait_loadcnt 0x0
	v_mul_f32_e32 v10, v45, v18
	v_add3_u32 v56, v59, v56, v33
	v_mul_f32_e32 v59, v41, v17
	v_dual_mul_f32 v41, v41, v16 :: v_dual_lshlrev_b32 v48, 4, v58
	v_lshlrev_b32_e32 v52, 4, v39
	v_fma_f32 v11, v42, v11, -v43
	s_delay_alu instid0(VALU_DEP_4) | instskip(NEXT) | instid1(VALU_DEP_4)
	v_fmac_f32_e32 v59, v40, v16
	v_fma_f32 v16, v40, v17, -v41
	s_wait_dscnt 0x0
	v_mul_f32_e32 v41, v47, v12
	s_clause 0x1
	global_load_b128 v[48:51], v48, s[8:9] offset:160
	global_load_b128 v[52:55], v52, s[8:9] offset:160
	v_dual_add_f32 v43, v59, v60 :: v_dual_lshlrev_b32 v58, 3, v58
	v_dual_mul_f32 v17, v45, v19 :: v_dual_mul_f32 v40, v47, v13
	v_sub_f32_e32 v45, v16, v11
	s_delay_alu instid0(VALU_DEP_3)
	v_add3_u32 v57, v57, v58, v33
	v_dual_add_f32 v42, v20, v59 :: v_dual_add_f32 v47, v21, v16
	v_add_f32_e32 v16, v16, v11
	v_sub_f32_e32 v58, v59, v60
	v_fma_f32 v20, -0.5, v43, v20
	v_fmac_f32_e32 v17, v44, v18
	v_fma_f32 v18, v44, v19, -v10
	v_fma_f32 v13, v46, v13, -v41
	global_wb scope:SCOPE_SE
	s_wait_loadcnt 0x0
	s_barrier_signal -1
	s_barrier_wait -1
	global_inv scope:SCOPE_SE
	v_fmac_f32_e32 v40, v46, v12
	v_dual_add_f32 v10, v42, v60 :: v_dual_mul_f32 v59, v49, v9
	v_dual_mul_f32 v49, v49, v8 :: v_dual_mul_f32 v62, v3, v53
	v_mul_f32_e32 v61, v51, v15
	v_mul_f32_e32 v51, v51, v14
	;; [unrolled: 1-line block ×3, first 2 shown]
	s_delay_alu instid0(VALU_DEP_4)
	v_dual_mul_f32 v63, v29, v55 :: v_dual_fmac_f32 v62, v2, v52
	v_dual_mul_f32 v55, v28, v55 :: v_dual_fmamk_f32 v2, v45, 0xbf5db3d7, v20
	v_fmac_f32_e32 v21, -0.5, v16
	v_fmac_f32_e32 v59, v48, v8
	v_fma_f32 v8, v48, v9, -v49
	v_fma_f32 v9, v3, v52, -v53
	v_dual_fmac_f32 v20, 0x3f5db3d7, v45 :: v_dual_add_f32 v11, v47, v11
	v_dual_add_f32 v12, v4, v17 :: v_dual_fmac_f32 v61, v50, v14
	v_add_f32_e32 v16, v17, v40
	v_fma_f32 v14, v50, v15, -v51
	v_fma_f32 v15, v29, v54, -v55
	v_fmac_f32_e32 v63, v28, v54
	v_dual_sub_f32 v19, v18, v13 :: v_dual_add_f32 v28, v5, v18
	s_delay_alu instid0(VALU_DEP_4)
	v_dual_add_f32 v44, v8, v14 :: v_dual_fmamk_f32 v3, v58, 0x3f5db3d7, v21
	v_sub_f32_e32 v42, v8, v14
	v_dual_fmac_f32 v21, 0xbf5db3d7, v58 :: v_dual_add_f32 v50, v9, v15
	v_dual_add_f32 v18, v18, v13 :: v_dual_sub_f32 v17, v17, v40
	v_dual_add_f32 v46, v0, v62 :: v_dual_add_f32 v29, v6, v59
	v_dual_add_f32 v43, v7, v8 :: v_dual_sub_f32 v48, v9, v15
	v_dual_add_f32 v41, v59, v61 :: v_dual_add_f32 v8, v12, v40
	v_fma_f32 v12, -0.5, v16, v4
	v_add_f32_e32 v47, v62, v63
	v_add_f32_e32 v49, v1, v9
	ds_store_2addr_b64 v25, v[10:11], v[2:3] offset1:30
	ds_store_b64 v25, v[20:21] offset:480
	v_dual_add_f32 v10, v29, v61 :: v_dual_add_f32 v11, v43, v14
	v_add_f32_e32 v2, v46, v63
	v_fma_f32 v6, -0.5, v41, v6
	v_sub_f32_e32 v51, v62, v63
	v_add_f32_e32 v9, v28, v13
	v_fma_f32 v13, -0.5, v18, v5
	s_delay_alu instid0(VALU_DEP_4)
	v_dual_fmac_f32 v1, -0.5, v50 :: v_dual_fmamk_f32 v16, v42, 0xbf5db3d7, v6
	v_fmamk_f32 v14, v19, 0xbf5db3d7, v12
	v_dual_sub_f32 v45, v59, v61 :: v_dual_fmac_f32 v0, -0.5, v47
	v_dual_fmac_f32 v7, -0.5, v44 :: v_dual_fmac_f32 v12, 0x3f5db3d7, v19
	v_add_f32_e32 v3, v49, v15
	v_dual_fmamk_f32 v15, v17, 0x3f5db3d7, v13 :: v_dual_fmac_f32 v6, 0x3f5db3d7, v42
	s_delay_alu instid0(VALU_DEP_4)
	v_fmamk_f32 v4, v48, 0xbf5db3d7, v0
	v_dual_fmac_f32 v0, 0x3f5db3d7, v48 :: v_dual_fmamk_f32 v5, v51, 0x3f5db3d7, v1
	v_fmac_f32_e32 v1, 0xbf5db3d7, v51
	v_fmac_f32_e32 v13, 0xbf5db3d7, v17
	v_fmamk_f32 v17, v45, 0x3f5db3d7, v7
	v_fmac_f32_e32 v7, 0xbf5db3d7, v45
	ds_store_2addr_b64 v56, v[8:9], v[14:15] offset1:30
	ds_store_b64 v56, v[12:13] offset:480
	ds_store_2addr_b64 v57, v[10:11], v[16:17] offset1:30
	ds_store_b64 v57, v[6:7] offset:480
	s_and_saveexec_b32 s1, s0
	s_cbranch_execz .LBB0_27
; %bb.26:
	v_lshlrev_b32_e32 v6, 3, v39
	s_delay_alu instid0(VALU_DEP_1)
	v_add3_u32 v6, 0, v6, v33
	ds_store_2addr_b64 v6, v[2:3], v[4:5] offset0:180 offset1:210
	ds_store_b64 v6, v[0:1] offset:1920
.LBB0_27:
	s_wait_alu 0xfffe
	s_or_b32 exec_lo, exec_lo, s1
	global_wb scope:SCOPE_SE
	s_wait_dscnt 0x0
	s_barrier_signal -1
	s_barrier_wait -1
	global_inv scope:SCOPE_SE
	ds_load_b64 v[28:29], v34
	ds_load_2addr_b64 v[18:21], v25 offset0:90 offset1:117
	ds_load_2addr_b64 v[10:13], v25 offset0:144 offset1:180
	;; [unrolled: 1-line block ×4, first 2 shown]
	s_and_saveexec_b32 s1, s0
	s_cbranch_execz .LBB0_29
; %bb.28:
	ds_load_2addr_b64 v[2:5], v25 offset0:81 offset1:171
	ds_load_b64 v[0:1], v25 offset:2088
.LBB0_29:
	s_wait_alu 0xfffe
	s_or_b32 exec_lo, exec_lo, s1
	global_load_b128 v[39:42], v[30:31], off offset:640
	v_dual_mov_b32 v31, 0 :: v_dual_lshlrev_b32 v30, 1, v38
	s_delay_alu instid0(VALU_DEP_1) | instskip(SKIP_1) | instid1(VALU_DEP_1)
	v_lshlrev_b64_e32 v[43:44], 3, v[30:31]
	v_lshlrev_b32_e32 v30, 1, v37
	v_lshlrev_b64_e32 v[47:48], 3, v[30:31]
	s_delay_alu instid0(VALU_DEP_3) | instskip(SKIP_1) | instid1(VALU_DEP_4)
	v_add_co_u32 v37, s1, s8, v43
	s_wait_alu 0xf1ff
	v_add_co_ci_u32_e64 v38, s1, s9, v44, s1
	v_mul_i32_i24_e32 v30, 0xffffffb8, v24
	global_load_b128 v[43:46], v[37:38], off offset:640
	v_add_co_u32 v37, s1, s8, v47
	s_wait_alu 0xf1ff
	v_add_co_ci_u32_e64 v38, s1, s9, v48, s1
	v_add3_u32 v30, v35, v30, v33
	global_load_b128 v[47:50], v[37:38], off offset:640
	global_wb scope:SCOPE_SE
	s_wait_loadcnt_dscnt 0x0
	v_add_nc_u32_e32 v33, 0x400, v30
	s_barrier_signal -1
	s_barrier_wait -1
	global_inv scope:SCOPE_SE
	v_dual_mul_f32 v34, v40, v19 :: v_dual_mul_f32 v37, v42, v13
	v_dual_mul_f32 v35, v40, v18 :: v_dual_mul_f32 v38, v42, v12
	s_delay_alu instid0(VALU_DEP_2) | instskip(NEXT) | instid1(VALU_DEP_2)
	v_dual_fmac_f32 v34, v39, v18 :: v_dual_fmac_f32 v37, v41, v12
	v_fma_f32 v18, v39, v19, -v35
	s_delay_alu instid0(VALU_DEP_3) | instskip(NEXT) | instid1(VALU_DEP_3)
	v_fma_f32 v13, v41, v13, -v38
	v_dual_add_f32 v12, v28, v34 :: v_dual_add_f32 v19, v34, v37
	s_delay_alu instid0(VALU_DEP_3) | instskip(SKIP_1) | instid1(VALU_DEP_4)
	v_add_f32_e32 v38, v29, v18
	v_sub_f32_e32 v34, v34, v37
	v_sub_f32_e32 v35, v18, v13
	s_delay_alu instid0(VALU_DEP_4) | instskip(SKIP_3) | instid1(VALU_DEP_2)
	v_add_f32_e32 v12, v12, v37
	v_fma_f32 v28, -0.5, v19, v28
	v_mul_f32_e32 v39, v46, v15
	v_dual_mul_f32 v37, v44, v21 :: v_dual_mul_f32 v40, v46, v14
	v_fmac_f32_e32 v39, v45, v14
	s_delay_alu instid0(VALU_DEP_2) | instskip(SKIP_1) | instid1(VALU_DEP_4)
	v_dual_fmac_f32 v37, v43, v20 :: v_dual_add_f32 v18, v18, v13
	v_dual_add_f32 v13, v38, v13 :: v_dual_mul_f32 v38, v44, v20
	v_fma_f32 v14, v45, v15, -v40
	s_delay_alu instid0(VALU_DEP_3) | instskip(SKIP_1) | instid1(VALU_DEP_4)
	v_dual_fmac_f32 v29, -0.5, v18 :: v_dual_fmamk_f32 v18, v35, 0xbf5db3d7, v28
	v_fmac_f32_e32 v28, 0x3f5db3d7, v35
	v_fma_f32 v20, v43, v21, -v38
	v_mul_f32_e32 v21, v48, v10
	s_delay_alu instid0(VALU_DEP_4)
	v_fmamk_f32 v19, v34, 0x3f5db3d7, v29
	v_dual_fmac_f32 v29, 0xbf5db3d7, v34 :: v_dual_mul_f32 v34, v50, v17
	v_mul_f32_e32 v15, v48, v11
	v_mul_f32_e32 v35, v50, v16
	ds_store_2addr_b64 v25, v[18:19], v[28:29] offset0:90 offset1:180
	v_dual_fmac_f32 v34, v49, v16 :: v_dual_fmac_f32 v15, v47, v10
	v_fma_f32 v16, v49, v17, -v35
	v_add_f32_e32 v10, v6, v37
	v_fma_f32 v18, v47, v11, -v21
	v_add_f32_e32 v11, v37, v39
	s_delay_alu instid0(VALU_DEP_3) | instskip(NEXT) | instid1(VALU_DEP_2)
	v_dual_add_f32 v10, v10, v39 :: v_dual_add_f32 v19, v7, v20
	v_fma_f32 v28, -0.5, v11, v6
	v_add_f32_e32 v6, v8, v15
	v_sub_f32_e32 v21, v37, v39
	v_sub_f32_e32 v17, v20, v14
	v_add_f32_e32 v20, v20, v14
	v_add_f32_e32 v11, v19, v14
	v_sub_f32_e32 v19, v18, v16
	s_delay_alu instid0(VALU_DEP_4) | instskip(NEXT) | instid1(VALU_DEP_4)
	v_dual_add_f32 v6, v6, v34 :: v_dual_fmamk_f32 v29, v17, 0xbf5db3d7, v28
	v_fma_f32 v14, -0.5, v20, v7
	v_add_f32_e32 v7, v15, v34
	v_add_f32_e32 v20, v9, v18
	v_dual_add_f32 v18, v18, v16 :: v_dual_sub_f32 v15, v15, v34
	v_fmac_f32_e32 v28, 0x3f5db3d7, v17
	s_delay_alu instid0(VALU_DEP_4) | instskip(SKIP_1) | instid1(VALU_DEP_4)
	v_fma_f32 v8, -0.5, v7, v8
	v_fmamk_f32 v17, v21, 0x3f5db3d7, v14
	v_dual_fmac_f32 v9, -0.5, v18 :: v_dual_fmac_f32 v14, 0xbf5db3d7, v21
	v_add_f32_e32 v7, v20, v16
	ds_store_2addr_b64 v25, v[12:13], v[10:11] offset1:27
	v_fmamk_f32 v10, v19, 0xbf5db3d7, v8
	v_dual_fmamk_f32 v11, v15, 0x3f5db3d7, v9 :: v_dual_fmac_f32 v8, 0x3f5db3d7, v19
	v_fmac_f32_e32 v9, 0xbf5db3d7, v15
	ds_store_2addr_b32 v30, v29, v17 offset0:234 offset1:235
	ds_store_2addr_b32 v33, v28, v14 offset0:158 offset1:159
	ds_store_b64 v25, v[6:7] offset:432
	ds_store_2addr_b32 v33, v10, v11 offset0:32 offset1:33
	ds_store_2addr_b32 v33, v8, v9 offset0:212 offset1:213
	s_and_saveexec_b32 s1, s0
	s_cbranch_execz .LBB0_31
; %bb.30:
	v_add_nc_u32_e32 v6, -9, v24
	s_delay_alu instid0(VALU_DEP_1) | instskip(NEXT) | instid1(VALU_DEP_1)
	v_cndmask_b32_e64 v6, v6, v36, s0
	v_lshlrev_b32_e32 v30, 1, v6
	s_delay_alu instid0(VALU_DEP_1) | instskip(NEXT) | instid1(VALU_DEP_1)
	v_lshlrev_b64_e32 v[6:7], 3, v[30:31]
	v_add_co_u32 v6, s0, s8, v6
	s_wait_alu 0xf1ff
	s_delay_alu instid0(VALU_DEP_2)
	v_add_co_ci_u32_e64 v7, s0, s9, v7, s0
	global_load_b128 v[6:9], v[6:7], off offset:640
	s_wait_loadcnt 0x0
	v_mul_f32_e32 v10, v4, v7
	v_mul_f32_e32 v11, v0, v9
	;; [unrolled: 1-line block ×4, first 2 shown]
	s_delay_alu instid0(VALU_DEP_4) | instskip(NEXT) | instid1(VALU_DEP_4)
	v_fma_f32 v5, v5, v6, -v10
	v_fma_f32 v10, v1, v8, -v11
	s_delay_alu instid0(VALU_DEP_4) | instskip(NEXT) | instid1(VALU_DEP_3)
	v_fmac_f32_e32 v9, v0, v8
	v_dual_fmac_f32 v7, v4, v6 :: v_dual_add_f32 v8, v3, v5
	s_delay_alu instid0(VALU_DEP_3) | instskip(NEXT) | instid1(VALU_DEP_2)
	v_add_f32_e32 v0, v5, v10
	v_dual_sub_f32 v11, v5, v10 :: v_dual_add_f32 v6, v7, v9
	v_dual_sub_f32 v4, v7, v9 :: v_dual_add_f32 v7, v2, v7
	s_delay_alu instid0(VALU_DEP_3) | instskip(SKIP_1) | instid1(VALU_DEP_4)
	v_fma_f32 v1, -0.5, v0, v3
	v_add_f32_e32 v3, v8, v10
	v_fma_f32 v0, -0.5, v6, v2
	s_delay_alu instid0(VALU_DEP_3) | instskip(NEXT) | instid1(VALU_DEP_2)
	v_dual_add_f32 v2, v7, v9 :: v_dual_fmamk_f32 v5, v4, 0xbf5db3d7, v1
	v_dual_fmac_f32 v1, 0x3f5db3d7, v4 :: v_dual_fmamk_f32 v4, v11, 0x3f5db3d7, v0
	v_fmac_f32_e32 v0, 0xbf5db3d7, v11
	ds_store_2addr_b64 v25, v[2:3], v[0:1] offset0:81 offset1:171
	ds_store_b64 v25, v[4:5] offset:2088
.LBB0_31:
	s_wait_alu 0xfffe
	s_or_b32 exec_lo, exec_lo, s1
	global_wb scope:SCOPE_SE
	s_wait_dscnt 0x0
	s_barrier_signal -1
	s_barrier_wait -1
	global_inv scope:SCOPE_SE
	s_and_saveexec_b32 s0, vcc_lo
	s_cbranch_execz .LBB0_33
; %bb.32:
	v_mul_lo_u32 v0, s3, v26
	v_mul_lo_u32 v1, s2, v27
	v_mad_co_u64_u32 v[4:5], null, s2, v26, 0
	v_dual_mov_b32 v25, 0 :: v_dual_add_nc_u32 v10, 27, v24
	v_lshl_add_u32 v26, v24, 3, v32
	v_lshlrev_b64_e32 v[8:9], 3, v[22:23]
	s_delay_alu instid0(VALU_DEP_3)
	v_dual_mov_b32 v11, v25 :: v_dual_add_nc_u32 v12, 54, v24
	v_add3_u32 v5, v5, v1, v0
	ds_load_2addr_b64 v[0:3], v26 offset1:27
	v_lshlrev_b64_e32 v[16:17], 3, v[24:25]
	v_mov_b32_e32 v13, v25
	v_lshlrev_b64_e32 v[10:11], 3, v[10:11]
	v_lshlrev_b64_e32 v[14:15], 3, v[4:5]
	ds_load_2addr_b64 v[4:7], v26 offset0:54 offset1:81
	v_dual_mov_b32 v19, v25 :: v_dual_add_nc_u32 v18, 0xd8, v24
	v_add_co_u32 v14, vcc_lo, s6, v14
	s_wait_alu 0xfffd
	v_add_co_ci_u32_e32 v15, vcc_lo, s7, v15, vcc_lo
	s_delay_alu instid0(VALU_DEP_2) | instskip(SKIP_1) | instid1(VALU_DEP_2)
	v_add_co_u32 v27, vcc_lo, v14, v8
	s_wait_alu 0xfffd
	v_add_co_ci_u32_e32 v28, vcc_lo, v15, v9, vcc_lo
	v_dual_mov_b32 v15, v25 :: v_dual_add_nc_u32 v14, 0x51, v24
	v_lshlrev_b64_e32 v[8:9], 3, v[12:13]
	v_add_co_u32 v12, vcc_lo, v27, v16
	v_add_nc_u32_e32 v16, 0x6c, v24
	s_wait_alu 0xfffd
	v_add_co_ci_u32_e32 v13, vcc_lo, v28, v17, vcc_lo
	v_add_co_u32 v10, vcc_lo, v27, v10
	v_lshlrev_b64_e32 v[14:15], 3, v[14:15]
	s_wait_alu 0xfffd
	v_add_co_ci_u32_e32 v11, vcc_lo, v28, v11, vcc_lo
	v_add_co_u32 v8, vcc_lo, v27, v8
	s_wait_alu 0xfffd
	v_add_co_ci_u32_e32 v9, vcc_lo, v28, v9, vcc_lo
	v_add_co_u32 v14, vcc_lo, v27, v14
	v_mov_b32_e32 v17, v25
	s_wait_alu 0xfffd
	v_add_co_ci_u32_e32 v15, vcc_lo, v28, v15, vcc_lo
	s_wait_dscnt 0x1
	s_clause 0x1
	global_store_b64 v[12:13], v[0:1], off
	global_store_b64 v[10:11], v[2:3], off
	s_wait_dscnt 0x0
	s_clause 0x1
	global_store_b64 v[8:9], v[4:5], off
	global_store_b64 v[14:15], v[6:7], off
	v_dual_mov_b32 v5, v25 :: v_dual_add_nc_u32 v4, 0x87, v24
	v_add_nc_u32_e32 v6, 0xa2, v24
	v_lshlrev_b64_e32 v[16:17], 3, v[16:17]
	v_dual_mov_b32 v7, v25 :: v_dual_add_nc_u32 v8, 0xbd, v24
	s_delay_alu instid0(VALU_DEP_4)
	v_lshlrev_b64_e32 v[4:5], 3, v[4:5]
	v_mov_b32_e32 v9, v25
	ds_load_2addr_b64 v[0:3], v26 offset0:108 offset1:135
	v_add_co_u32 v12, vcc_lo, v27, v16
	v_lshlrev_b64_e32 v[10:11], 3, v[6:7]
	s_wait_alu 0xfffd
	v_add_co_ci_u32_e32 v13, vcc_lo, v28, v17, vcc_lo
	v_add_co_u32 v14, vcc_lo, v27, v4
	s_wait_alu 0xfffd
	v_add_co_ci_u32_e32 v15, vcc_lo, v28, v5, vcc_lo
	ds_load_2addr_b64 v[4:7], v26 offset0:162 offset1:189
	v_add_co_u32 v20, vcc_lo, v27, v10
	v_lshlrev_b64_e32 v[16:17], 3, v[8:9]
	s_wait_alu 0xfffd
	v_add_co_ci_u32_e32 v21, vcc_lo, v28, v11, vcc_lo
	ds_load_2addr_b64 v[8:11], v26 offset0:216 offset1:243
	v_add_nc_u32_e32 v24, 0xf3, v24
	v_lshlrev_b64_e32 v[18:19], 3, v[18:19]
	v_add_co_u32 v16, vcc_lo, v27, v16
	s_wait_alu 0xfffd
	v_add_co_ci_u32_e32 v17, vcc_lo, v28, v17, vcc_lo
	v_lshlrev_b64_e32 v[22:23], 3, v[24:25]
	s_delay_alu instid0(VALU_DEP_4) | instskip(SKIP_2) | instid1(VALU_DEP_3)
	v_add_co_u32 v18, vcc_lo, v27, v18
	s_wait_alu 0xfffd
	v_add_co_ci_u32_e32 v19, vcc_lo, v28, v19, vcc_lo
	v_add_co_u32 v22, vcc_lo, v27, v22
	s_wait_alu 0xfffd
	v_add_co_ci_u32_e32 v23, vcc_lo, v28, v23, vcc_lo
	s_wait_dscnt 0x2
	s_clause 0x1
	global_store_b64 v[12:13], v[0:1], off
	global_store_b64 v[14:15], v[2:3], off
	s_wait_dscnt 0x1
	s_clause 0x1
	global_store_b64 v[20:21], v[4:5], off
	global_store_b64 v[16:17], v[6:7], off
	;; [unrolled: 4-line block ×3, first 2 shown]
.LBB0_33:
	s_nop 0
	s_sendmsg sendmsg(MSG_DEALLOC_VGPRS)
	s_endpgm
	.section	.rodata,"a",@progbits
	.p2align	6, 0x0
	.amdhsa_kernel fft_rtc_back_len270_factors_10_3_3_3_wgs_108_tpt_27_halfLds_sp_op_CI_CI_unitstride_sbrr_C2R_dirReg
		.amdhsa_group_segment_fixed_size 0
		.amdhsa_private_segment_fixed_size 0
		.amdhsa_kernarg_size 104
		.amdhsa_user_sgpr_count 2
		.amdhsa_user_sgpr_dispatch_ptr 0
		.amdhsa_user_sgpr_queue_ptr 0
		.amdhsa_user_sgpr_kernarg_segment_ptr 1
		.amdhsa_user_sgpr_dispatch_id 0
		.amdhsa_user_sgpr_private_segment_size 0
		.amdhsa_wavefront_size32 1
		.amdhsa_uses_dynamic_stack 0
		.amdhsa_enable_private_segment 0
		.amdhsa_system_sgpr_workgroup_id_x 1
		.amdhsa_system_sgpr_workgroup_id_y 0
		.amdhsa_system_sgpr_workgroup_id_z 0
		.amdhsa_system_sgpr_workgroup_info 0
		.amdhsa_system_vgpr_workitem_id 0
		.amdhsa_next_free_vgpr 64
		.amdhsa_next_free_sgpr 39
		.amdhsa_reserve_vcc 1
		.amdhsa_float_round_mode_32 0
		.amdhsa_float_round_mode_16_64 0
		.amdhsa_float_denorm_mode_32 3
		.amdhsa_float_denorm_mode_16_64 3
		.amdhsa_fp16_overflow 0
		.amdhsa_workgroup_processor_mode 1
		.amdhsa_memory_ordered 1
		.amdhsa_forward_progress 0
		.amdhsa_round_robin_scheduling 0
		.amdhsa_exception_fp_ieee_invalid_op 0
		.amdhsa_exception_fp_denorm_src 0
		.amdhsa_exception_fp_ieee_div_zero 0
		.amdhsa_exception_fp_ieee_overflow 0
		.amdhsa_exception_fp_ieee_underflow 0
		.amdhsa_exception_fp_ieee_inexact 0
		.amdhsa_exception_int_div_zero 0
	.end_amdhsa_kernel
	.text
.Lfunc_end0:
	.size	fft_rtc_back_len270_factors_10_3_3_3_wgs_108_tpt_27_halfLds_sp_op_CI_CI_unitstride_sbrr_C2R_dirReg, .Lfunc_end0-fft_rtc_back_len270_factors_10_3_3_3_wgs_108_tpt_27_halfLds_sp_op_CI_CI_unitstride_sbrr_C2R_dirReg
                                        ; -- End function
	.section	.AMDGPU.csdata,"",@progbits
; Kernel info:
; codeLenInByte = 7612
; NumSgprs: 41
; NumVgprs: 64
; ScratchSize: 0
; MemoryBound: 0
; FloatMode: 240
; IeeeMode: 1
; LDSByteSize: 0 bytes/workgroup (compile time only)
; SGPRBlocks: 5
; VGPRBlocks: 7
; NumSGPRsForWavesPerEU: 41
; NumVGPRsForWavesPerEU: 64
; Occupancy: 16
; WaveLimiterHint : 1
; COMPUTE_PGM_RSRC2:SCRATCH_EN: 0
; COMPUTE_PGM_RSRC2:USER_SGPR: 2
; COMPUTE_PGM_RSRC2:TRAP_HANDLER: 0
; COMPUTE_PGM_RSRC2:TGID_X_EN: 1
; COMPUTE_PGM_RSRC2:TGID_Y_EN: 0
; COMPUTE_PGM_RSRC2:TGID_Z_EN: 0
; COMPUTE_PGM_RSRC2:TIDIG_COMP_CNT: 0
	.text
	.p2alignl 7, 3214868480
	.fill 96, 4, 3214868480
	.type	__hip_cuid_a23fe26f53475559,@object ; @__hip_cuid_a23fe26f53475559
	.section	.bss,"aw",@nobits
	.globl	__hip_cuid_a23fe26f53475559
__hip_cuid_a23fe26f53475559:
	.byte	0                               ; 0x0
	.size	__hip_cuid_a23fe26f53475559, 1

	.ident	"AMD clang version 19.0.0git (https://github.com/RadeonOpenCompute/llvm-project roc-6.4.0 25133 c7fe45cf4b819c5991fe208aaa96edf142730f1d)"
	.section	".note.GNU-stack","",@progbits
	.addrsig
	.addrsig_sym __hip_cuid_a23fe26f53475559
	.amdgpu_metadata
---
amdhsa.kernels:
  - .args:
      - .actual_access:  read_only
        .address_space:  global
        .offset:         0
        .size:           8
        .value_kind:     global_buffer
      - .offset:         8
        .size:           8
        .value_kind:     by_value
      - .actual_access:  read_only
        .address_space:  global
        .offset:         16
        .size:           8
        .value_kind:     global_buffer
      - .actual_access:  read_only
        .address_space:  global
        .offset:         24
        .size:           8
        .value_kind:     global_buffer
      - .actual_access:  read_only
        .address_space:  global
        .offset:         32
        .size:           8
        .value_kind:     global_buffer
      - .offset:         40
        .size:           8
        .value_kind:     by_value
      - .actual_access:  read_only
        .address_space:  global
        .offset:         48
        .size:           8
        .value_kind:     global_buffer
      - .actual_access:  read_only
        .address_space:  global
        .offset:         56
        .size:           8
        .value_kind:     global_buffer
      - .offset:         64
        .size:           4
        .value_kind:     by_value
      - .actual_access:  read_only
        .address_space:  global
        .offset:         72
        .size:           8
        .value_kind:     global_buffer
      - .actual_access:  read_only
        .address_space:  global
        .offset:         80
        .size:           8
        .value_kind:     global_buffer
      - .actual_access:  read_only
        .address_space:  global
        .offset:         88
        .size:           8
        .value_kind:     global_buffer
      - .actual_access:  write_only
        .address_space:  global
        .offset:         96
        .size:           8
        .value_kind:     global_buffer
    .group_segment_fixed_size: 0
    .kernarg_segment_align: 8
    .kernarg_segment_size: 104
    .language:       OpenCL C
    .language_version:
      - 2
      - 0
    .max_flat_workgroup_size: 108
    .name:           fft_rtc_back_len270_factors_10_3_3_3_wgs_108_tpt_27_halfLds_sp_op_CI_CI_unitstride_sbrr_C2R_dirReg
    .private_segment_fixed_size: 0
    .sgpr_count:     41
    .sgpr_spill_count: 0
    .symbol:         fft_rtc_back_len270_factors_10_3_3_3_wgs_108_tpt_27_halfLds_sp_op_CI_CI_unitstride_sbrr_C2R_dirReg.kd
    .uniform_work_group_size: 1
    .uses_dynamic_stack: false
    .vgpr_count:     64
    .vgpr_spill_count: 0
    .wavefront_size: 32
    .workgroup_processor_mode: 1
amdhsa.target:   amdgcn-amd-amdhsa--gfx1201
amdhsa.version:
  - 1
  - 2
...

	.end_amdgpu_metadata
